;; amdgpu-corpus repo=ROCm/rocFFT kind=compiled arch=gfx906 opt=O3
	.text
	.amdgcn_target "amdgcn-amd-amdhsa--gfx906"
	.amdhsa_code_object_version 6
	.protected	fft_rtc_back_len1190_factors_17_2_5_7_wgs_255_tpt_85_halfLds_half_op_CI_CI_unitstride_sbrr_dirReg ; -- Begin function fft_rtc_back_len1190_factors_17_2_5_7_wgs_255_tpt_85_halfLds_half_op_CI_CI_unitstride_sbrr_dirReg
	.globl	fft_rtc_back_len1190_factors_17_2_5_7_wgs_255_tpt_85_halfLds_half_op_CI_CI_unitstride_sbrr_dirReg
	.p2align	8
	.type	fft_rtc_back_len1190_factors_17_2_5_7_wgs_255_tpt_85_halfLds_half_op_CI_CI_unitstride_sbrr_dirReg,@function
fft_rtc_back_len1190_factors_17_2_5_7_wgs_255_tpt_85_halfLds_half_op_CI_CI_unitstride_sbrr_dirReg: ; @fft_rtc_back_len1190_factors_17_2_5_7_wgs_255_tpt_85_halfLds_half_op_CI_CI_unitstride_sbrr_dirReg
; %bb.0:
	v_mul_u32_u24_e32 v1, 0x304, v0
	s_load_dwordx4 s[8:11], s[4:5], 0x58
	s_load_dwordx4 s[12:15], s[4:5], 0x0
	;; [unrolled: 1-line block ×3, first 2 shown]
	v_lshrrev_b32_e32 v1, 16, v1
	v_mad_u64_u32 v[7:8], s[0:1], s6, 3, v[1:2]
	v_mov_b32_e32 v3, 0
	s_waitcnt lgkmcnt(0)
	v_cmp_lt_u64_e64 s[0:1], s[14:15], 2
	v_mov_b32_e32 v9, 0
	v_mov_b32_e32 v8, v3
	;; [unrolled: 1-line block ×5, first 2 shown]
	s_and_b64 vcc, exec, s[0:1]
	v_mov_b32_e32 v2, v10
	v_mov_b32_e32 v6, v8
	s_cbranch_vccnz .LBB0_8
; %bb.1:
	s_load_dwordx2 s[0:1], s[4:5], 0x10
	s_add_u32 s2, s18, 8
	s_addc_u32 s3, s19, 0
	s_add_u32 s6, s16, 8
	s_addc_u32 s7, s17, 0
	v_mov_b32_e32 v9, 0
	s_waitcnt lgkmcnt(0)
	s_add_u32 s20, s0, 8
	v_mov_b32_e32 v10, 0
	v_mov_b32_e32 v1, v9
	;; [unrolled: 1-line block ×3, first 2 shown]
	s_addc_u32 s21, s1, 0
	s_mov_b64 s[22:23], 1
	v_mov_b32_e32 v2, v10
	v_mov_b32_e32 v11, v7
.LBB0_2:                                ; =>This Inner Loop Header: Depth=1
	s_load_dwordx2 s[24:25], s[20:21], 0x0
                                        ; implicit-def: $vgpr5_vgpr6
	s_waitcnt lgkmcnt(0)
	v_or_b32_e32 v4, s25, v12
	v_cmp_ne_u64_e32 vcc, 0, v[3:4]
	s_and_saveexec_b64 s[0:1], vcc
	s_xor_b64 s[26:27], exec, s[0:1]
	s_cbranch_execz .LBB0_4
; %bb.3:                                ;   in Loop: Header=BB0_2 Depth=1
	v_cvt_f32_u32_e32 v4, s24
	v_cvt_f32_u32_e32 v5, s25
	s_sub_u32 s0, 0, s24
	s_subb_u32 s1, 0, s25
	v_mac_f32_e32 v4, 0x4f800000, v5
	v_rcp_f32_e32 v4, v4
	v_mul_f32_e32 v4, 0x5f7ffffc, v4
	v_mul_f32_e32 v5, 0x2f800000, v4
	v_trunc_f32_e32 v5, v5
	v_mac_f32_e32 v4, 0xcf800000, v5
	v_cvt_u32_f32_e32 v5, v5
	v_cvt_u32_f32_e32 v4, v4
	v_mul_lo_u32 v6, s0, v5
	v_mul_hi_u32 v8, s0, v4
	v_mul_lo_u32 v14, s1, v4
	v_mul_lo_u32 v13, s0, v4
	v_add_u32_e32 v6, v8, v6
	v_add_u32_e32 v6, v6, v14
	v_mul_hi_u32 v8, v4, v13
	v_mul_lo_u32 v14, v4, v6
	v_mul_hi_u32 v16, v4, v6
	v_mul_hi_u32 v15, v5, v13
	v_mul_lo_u32 v13, v5, v13
	v_mul_hi_u32 v17, v5, v6
	v_add_co_u32_e32 v8, vcc, v8, v14
	v_addc_co_u32_e32 v14, vcc, 0, v16, vcc
	v_mul_lo_u32 v6, v5, v6
	v_add_co_u32_e32 v8, vcc, v8, v13
	v_addc_co_u32_e32 v8, vcc, v14, v15, vcc
	v_addc_co_u32_e32 v13, vcc, 0, v17, vcc
	v_add_co_u32_e32 v6, vcc, v8, v6
	v_addc_co_u32_e32 v8, vcc, 0, v13, vcc
	v_add_co_u32_e32 v4, vcc, v4, v6
	v_addc_co_u32_e32 v5, vcc, v5, v8, vcc
	v_mul_lo_u32 v6, s0, v5
	v_mul_hi_u32 v8, s0, v4
	v_mul_lo_u32 v13, s1, v4
	v_mul_lo_u32 v14, s0, v4
	v_add_u32_e32 v6, v8, v6
	v_add_u32_e32 v6, v6, v13
	v_mul_lo_u32 v15, v4, v6
	v_mul_hi_u32 v16, v4, v14
	v_mul_hi_u32 v17, v4, v6
	;; [unrolled: 1-line block ×3, first 2 shown]
	v_mul_lo_u32 v14, v5, v14
	v_mul_hi_u32 v8, v5, v6
	v_add_co_u32_e32 v15, vcc, v16, v15
	v_addc_co_u32_e32 v16, vcc, 0, v17, vcc
	v_mul_lo_u32 v6, v5, v6
	v_add_co_u32_e32 v14, vcc, v15, v14
	v_addc_co_u32_e32 v13, vcc, v16, v13, vcc
	v_addc_co_u32_e32 v8, vcc, 0, v8, vcc
	v_add_co_u32_e32 v6, vcc, v13, v6
	v_addc_co_u32_e32 v8, vcc, 0, v8, vcc
	v_add_co_u32_e32 v6, vcc, v4, v6
	v_addc_co_u32_e32 v8, vcc, v5, v8, vcc
	v_mad_u64_u32 v[4:5], s[0:1], v11, v8, 0
	v_mul_hi_u32 v13, v11, v6
	v_add_co_u32_e32 v15, vcc, v13, v4
	v_addc_co_u32_e32 v16, vcc, 0, v5, vcc
	v_mad_u64_u32 v[4:5], s[0:1], v12, v6, 0
	v_mad_u64_u32 v[13:14], s[0:1], v12, v8, 0
	v_add_co_u32_e32 v4, vcc, v15, v4
	v_addc_co_u32_e32 v4, vcc, v16, v5, vcc
	v_addc_co_u32_e32 v5, vcc, 0, v14, vcc
	v_add_co_u32_e32 v8, vcc, v4, v13
	v_addc_co_u32_e32 v6, vcc, 0, v5, vcc
	v_mul_lo_u32 v13, s25, v8
	v_mul_lo_u32 v14, s24, v6
	v_mad_u64_u32 v[4:5], s[0:1], s24, v8, 0
	v_add3_u32 v5, v5, v14, v13
	v_sub_u32_e32 v13, v12, v5
	v_mov_b32_e32 v14, s25
	v_sub_co_u32_e32 v4, vcc, v11, v4
	v_subb_co_u32_e64 v13, s[0:1], v13, v14, vcc
	v_subrev_co_u32_e64 v14, s[0:1], s24, v4
	v_subbrev_co_u32_e64 v13, s[0:1], 0, v13, s[0:1]
	v_cmp_le_u32_e64 s[0:1], s25, v13
	v_cndmask_b32_e64 v15, 0, -1, s[0:1]
	v_cmp_le_u32_e64 s[0:1], s24, v14
	v_cndmask_b32_e64 v14, 0, -1, s[0:1]
	v_cmp_eq_u32_e64 s[0:1], s25, v13
	v_cndmask_b32_e64 v13, v15, v14, s[0:1]
	v_add_co_u32_e64 v14, s[0:1], 2, v8
	v_addc_co_u32_e64 v15, s[0:1], 0, v6, s[0:1]
	v_add_co_u32_e64 v16, s[0:1], 1, v8
	v_addc_co_u32_e64 v17, s[0:1], 0, v6, s[0:1]
	v_subb_co_u32_e32 v5, vcc, v12, v5, vcc
	v_cmp_ne_u32_e64 s[0:1], 0, v13
	v_cmp_le_u32_e32 vcc, s25, v5
	v_cndmask_b32_e64 v13, v17, v15, s[0:1]
	v_cndmask_b32_e64 v15, 0, -1, vcc
	v_cmp_le_u32_e32 vcc, s24, v4
	v_cndmask_b32_e64 v4, 0, -1, vcc
	v_cmp_eq_u32_e32 vcc, s25, v5
	v_cndmask_b32_e32 v4, v15, v4, vcc
	v_cmp_ne_u32_e32 vcc, 0, v4
	v_cndmask_b32_e64 v4, v16, v14, s[0:1]
	v_cndmask_b32_e32 v6, v6, v13, vcc
	v_cndmask_b32_e32 v5, v8, v4, vcc
.LBB0_4:                                ;   in Loop: Header=BB0_2 Depth=1
	s_andn2_saveexec_b64 s[0:1], s[26:27]
	s_cbranch_execz .LBB0_6
; %bb.5:                                ;   in Loop: Header=BB0_2 Depth=1
	v_cvt_f32_u32_e32 v4, s24
	s_sub_i32 s26, 0, s24
	v_rcp_iflag_f32_e32 v4, v4
	v_mul_f32_e32 v4, 0x4f7ffffe, v4
	v_cvt_u32_f32_e32 v4, v4
	v_mul_lo_u32 v5, s26, v4
	v_mul_hi_u32 v5, v4, v5
	v_add_u32_e32 v4, v4, v5
	v_mul_hi_u32 v4, v11, v4
	v_mul_lo_u32 v5, v4, s24
	v_add_u32_e32 v6, 1, v4
	v_sub_u32_e32 v5, v11, v5
	v_subrev_u32_e32 v8, s24, v5
	v_cmp_le_u32_e32 vcc, s24, v5
	v_cndmask_b32_e32 v5, v5, v8, vcc
	v_cndmask_b32_e32 v4, v4, v6, vcc
	v_add_u32_e32 v6, 1, v4
	v_cmp_le_u32_e32 vcc, s24, v5
	v_cndmask_b32_e32 v5, v4, v6, vcc
	v_mov_b32_e32 v6, v3
.LBB0_6:                                ;   in Loop: Header=BB0_2 Depth=1
	s_or_b64 exec, exec, s[0:1]
	v_mul_lo_u32 v4, v6, s24
	v_mul_lo_u32 v8, v5, s25
	v_mad_u64_u32 v[13:14], s[0:1], v5, s24, 0
	s_load_dwordx2 s[0:1], s[6:7], 0x0
	s_load_dwordx2 s[24:25], s[2:3], 0x0
	v_add3_u32 v4, v14, v8, v4
	v_sub_co_u32_e32 v8, vcc, v11, v13
	v_subb_co_u32_e32 v4, vcc, v12, v4, vcc
	s_waitcnt lgkmcnt(0)
	v_mul_lo_u32 v11, s0, v4
	v_mul_lo_u32 v12, s1, v8
	v_mad_u64_u32 v[9:10], s[0:1], s0, v8, v[9:10]
	s_add_u32 s22, s22, 1
	s_addc_u32 s23, s23, 0
	s_add_u32 s2, s2, 8
	v_mul_lo_u32 v4, s24, v4
	v_mul_lo_u32 v13, s25, v8
	v_mad_u64_u32 v[1:2], s[0:1], s24, v8, v[1:2]
	v_add3_u32 v10, v12, v10, v11
	s_addc_u32 s3, s3, 0
	v_mov_b32_e32 v11, s14
	s_add_u32 s6, s6, 8
	v_mov_b32_e32 v12, s15
	s_addc_u32 s7, s7, 0
	v_cmp_ge_u64_e32 vcc, s[22:23], v[11:12]
	s_add_u32 s20, s20, 8
	v_add3_u32 v2, v13, v2, v4
	s_addc_u32 s21, s21, 0
	s_cbranch_vccnz .LBB0_8
; %bb.7:                                ;   in Loop: Header=BB0_2 Depth=1
	v_mov_b32_e32 v12, v6
	v_mov_b32_e32 v11, v5
	s_branch .LBB0_2
.LBB0_8:
	s_mov_b32 s2, 0x3030304
	s_load_dwordx2 s[0:1], s[4:5], 0x28
	v_mul_hi_u32 v3, v0, s2
	s_lshl_b64 s[14:15], s[14:15], 3
	s_movk_i32 s2, 0x46
	s_add_u32 s4, s18, s14
	v_mul_u32_u24_e32 v3, 0x55, v3
	s_waitcnt lgkmcnt(0)
	v_cmp_gt_u64_e64 s[0:1], s[0:1], v[5:6]
	v_sub_u32_e32 v3, v0, v3
	v_cmp_gt_u32_e64 s[2:3], s2, v3
	s_addc_u32 s5, s19, s15
	s_and_b64 s[18:19], s[0:1], s[2:3]
	v_mov_b32_e32 v11, 0
	v_mov_b32_e32 v32, 0
                                        ; implicit-def: $vgpr12
                                        ; implicit-def: $vgpr4
                                        ; implicit-def: $vgpr13
                                        ; implicit-def: $vgpr8
                                        ; implicit-def: $vgpr14
                                        ; implicit-def: $vgpr28
                                        ; implicit-def: $vgpr15
                                        ; implicit-def: $vgpr29
                                        ; implicit-def: $vgpr16
                                        ; implicit-def: $vgpr30
                                        ; implicit-def: $vgpr17
                                        ; implicit-def: $vgpr31
                                        ; implicit-def: $vgpr18
                                        ; implicit-def: $vgpr33
                                        ; implicit-def: $vgpr19
                                        ; implicit-def: $vgpr34
                                        ; implicit-def: $vgpr20
                                        ; implicit-def: $vgpr35
                                        ; implicit-def: $vgpr21
                                        ; implicit-def: $vgpr36
                                        ; implicit-def: $vgpr22
                                        ; implicit-def: $vgpr37
                                        ; implicit-def: $vgpr23
                                        ; implicit-def: $vgpr38
                                        ; implicit-def: $vgpr24
                                        ; implicit-def: $vgpr39
                                        ; implicit-def: $vgpr25
                                        ; implicit-def: $vgpr42
                                        ; implicit-def: $vgpr26
                                        ; implicit-def: $vgpr41
                                        ; implicit-def: $vgpr27
                                        ; implicit-def: $vgpr40
	s_and_saveexec_b64 s[6:7], s[18:19]
	s_cbranch_execz .LBB0_10
; %bb.9:
	s_add_u32 s14, s16, s14
	s_addc_u32 s15, s17, s15
	s_load_dwordx2 s[14:15], s[14:15], 0x0
	v_mov_b32_e32 v13, s9
	v_mov_b32_e32 v4, 0
	s_waitcnt lgkmcnt(0)
	v_mul_lo_u32 v0, s15, v5
	v_mul_lo_u32 v8, s14, v6
	v_mad_u64_u32 v[11:12], s[14:15], s14, v5, 0
	v_add3_u32 v12, v12, v8, v0
	v_lshlrev_b64 v[11:12], 2, v[11:12]
	v_lshlrev_b64 v[8:9], 2, v[9:10]
	v_add_co_u32_e32 v0, vcc, s8, v11
	v_addc_co_u32_e32 v11, vcc, v13, v12, vcc
	v_add_co_u32_e32 v0, vcc, v0, v8
	v_addc_co_u32_e32 v11, vcc, v11, v9, vcc
	v_lshlrev_b64 v[8:9], 2, v[3:4]
	v_add_co_u32_e32 v10, vcc, v0, v8
	v_addc_co_u32_e32 v11, vcc, v11, v9, vcc
	v_add_co_u32_e32 v12, vcc, 0x1000, v10
	global_load_dword v32, v[10:11], off
	global_load_dword v4, v[10:11], off offset:280
	global_load_dword v8, v[10:11], off offset:560
	;; [unrolled: 1-line block ×7, first 2 shown]
	v_addc_co_u32_e32 v13, vcc, 0, v11, vcc
	global_load_dword v34, v[10:11], off offset:2240
	global_load_dword v35, v[10:11], off offset:2520
	global_load_dword v36, v[10:11], off offset:2800
	global_load_dword v37, v[10:11], off offset:3080
	global_load_dword v38, v[10:11], off offset:3360
	global_load_dword v39, v[10:11], off offset:3640
	global_load_dword v40, v[10:11], off offset:3920
	global_load_dword v41, v[12:13], off offset:104
	global_load_dword v42, v[12:13], off offset:384
	s_waitcnt vmcnt(16)
	v_lshrrev_b32_e32 v11, 16, v32
	s_waitcnt vmcnt(15)
	v_lshrrev_b32_e32 v12, 16, v4
	;; [unrolled: 2-line block ×17, first 2 shown]
.LBB0_10:
	s_or_b64 exec, exec, s[6:7]
	s_mov_b32 s6, 0xaaaaaaab
	v_mul_hi_u32 v0, v7, s6
	v_sub_f16_e32 v49, v12, v25
	v_add_f16_e32 v10, v4, v42
	s_movk_i32 s6, 0x3722
	v_lshrrev_b32_e32 v0, 1, v0
	v_lshl_add_u32 v0, v0, 1, v0
	v_mul_f16_e32 v54, 0xbb29, v49
	v_sub_u32_e32 v0, v7, v0
	v_fma_f16 v7, v10, s6, -v54
	v_sub_f16_e32 v51, v13, v26
	v_add_f16_e32 v9, v32, v7
	v_add_f16_e32 v7, v8, v41
	s_mov_b32 s6, 0xb8d2
	v_mul_f16_e32 v56, 0xba62, v51
	v_fma_f16 v43, v7, s6, -v56
	v_sub_f16_e32 v52, v14, v27
	v_add_f16_e32 v9, v9, v43
	v_add_f16_e32 v43, v28, v40
	s_mov_b32 s6, 0xbbdd
	v_mul_f16_e32 v58, 0x31e1, v52
	v_fma_f16 v44, v43, s6, -v58
	v_sub_f16_e32 v53, v15, v24
	v_add_f16_e32 v9, v9, v44
	s_mov_b32 s6, 0xb461
	v_add_f16_e32 v44, v29, v39
	v_mul_f16_e32 v60, 0x3bb2, v53
	v_fma_f16 v45, v44, s6, -v60
	v_sub_f16_e32 v55, v16, v23
	v_add_f16_e32 v9, v45, v9
	s_movk_i32 s23, 0x39e9
	v_add_f16_e32 v45, v30, v38
	v_mul_f16_e32 v62, 0x3964, v55
	v_fma_f16 v46, v45, s23, -v62
	v_sub_f16_e32 v57, v17, v22
	v_add_f16_e32 v9, v46, v9
	s_movk_i32 s6, 0x3b76
	;; [unrolled: 6-line block ×3, first 2 shown]
	v_add_f16_e32 v47, v33, v36
	v_mul_f16_e32 v64, 0xbbf7, v59
	v_fma_f16 v48, v47, s6, -v64
	v_sub_f16_e32 v61, v19, v20
	v_add_f16_e32 v9, v48, v9
	s_mov_b32 s6, 0xbacd
	v_add_f16_e32 v48, v34, v35
	v_mul_f16_e32 v50, 0xb836, v61
	v_fma_f16 v65, v48, s6, -v50
	v_mul_u32_u24_e32 v0, 0x4a6, v0
	v_add_f16_e32 v9, v65, v9
	s_mov_b32 s24, 0xbb29
	s_mov_b32 s28, 0xba62
	s_movk_i32 s30, 0x31e1
	s_movk_i32 s26, 0x3bb2
	s_mov_b32 s29, 0xb5c8
	s_mov_b32 s27, 0xbbf7
	;; [unrolled: 1-line block ×3, first 2 shown]
	v_lshlrev_b32_e32 v0, 1, v0
	s_and_saveexec_b64 s[6:7], s[2:3]
	s_cbranch_execz .LBB0_12
; %bb.11:
	v_mul_f16_e32 v83, 0x2de8, v10
	s_movk_i32 s33, 0x3bf7
	v_fma_f16 v84, v49, s33, v83
	v_mul_f16_e32 v85, 0xbbdd, v7
	v_add_f16_e32 v84, v32, v84
	v_fma_f16 v86, v51, s30, v85
	v_add_f16_e32 v84, v84, v86
	v_mul_f16_e32 v86, 0xb461, v43
	s_mov_b32 s30, 0xbbb2
	v_fma_f16 v87, v52, s30, v86
	v_add_f16_e32 v84, v84, v87
	v_mul_f16_e32 v87, 0x3b76, v44
	v_fma_f16 v88, v53, s29, v87
	v_add_f16_e32 v84, v88, v84
	v_mul_f16_e32 v88, 0x3722, v45
	s_movk_i32 s29, 0x3b29
	v_fma_f16 v89, v55, s29, v88
	v_fma_f16 v83, v49, s27, v83
	s_mov_b32 s27, 0xb1e1
	v_add_f16_e32 v84, v89, v84
	v_mul_f16_e32 v89, 0xbacd, v46
	s_movk_i32 s29, 0x3836
	v_add_f16_e32 v83, v32, v83
	v_fma_f16 v85, v51, s27, v85
	v_fma_f16 v90, v57, s29, v89
	v_add_f16_e32 v83, v83, v85
	v_fma_f16 v86, v52, s26, v86
	s_movk_i32 s29, 0x35c8
	v_add_f16_e32 v83, v83, v86
	v_fma_f16 v87, v53, s29, v87
	v_mul_f16_e32 v65, 0x3722, v10
	v_add_f16_e32 v83, v87, v83
	s_mov_b32 s29, 0xb1e1b5c8
	v_fma_f16 v88, v55, s24, v88
	v_mul_f16_e32 v66, 0xb8d2, v7
	v_add_f16_e32 v83, v88, v83
	v_pk_mul_f16 v88, v59, s29 op_sel_hi:[0,1]
	s_mov_b32 s29, 0x3b29ba62
	v_fma_f16 v89, v57, s25, v89
	v_add_f16_e32 v54, v54, v65
	v_mul_f16_e32 v67, 0xbbdd, v43
	s_mov_b32 s9, 0xb1e1b836
	s_mov_b32 s21, 0xba62bbb2
	v_add_f16_e32 v83, v89, v83
	v_pk_mul_f16 v89, v61, s29 op_sel_hi:[0,1]
	v_add_f16_e32 v54, v32, v54
	v_add_f16_e32 v56, v56, v66
	s_mov_b32 s29, 0xb964b5c8
	v_pk_mul_f16 v73, v49, s9 op_sel_hi:[0,1]
	v_pk_mul_f16 v81, v49, s21 op_sel_hi:[0,1]
	v_add_f16_e32 v54, v54, v56
	v_add_f16_e32 v56, v58, v67
	v_pk_mul_f16 v58, v49, s29 op_sel_hi:[0,1]
	v_add_f16_e32 v49, v32, v4
	v_add_f16_e32 v49, v49, v8
	;; [unrolled: 1-line block ×12, first 2 shown]
	v_mul_f16_e32 v68, 0xb461, v44
	v_add_f16_e32 v84, v90, v84
	v_mul_f16_e32 v90, 0xb8d2, v47
	v_add_f16_e32 v49, v49, v39
	v_mul_f16_e32 v69, 0x39e9, v45
	s_mov_b32 s14, 0x35c83b29
	s_mov_b32 s22, 0x3bb23836
	v_fma_f16 v91, v59, s28, v90
	v_add_f16_e32 v54, v54, v56
	v_add_f16_e32 v56, v60, v68
	s_mov_b32 s30, 0xbbf7b964
	v_add_f16_e32 v49, v49, v40
	v_mul_f16_e32 v70, 0x3b76, v46
	v_pk_mul_f16 v74, v51, s14 op_sel_hi:[0,1]
	v_pk_mul_f16 v82, v51, s22 op_sel_hi:[0,1]
	v_add_f16_e32 v84, v91, v84
	v_mul_f16_e32 v91, 0x3964, v61
	s_movk_i32 s25, 0x3a62
	v_add_f16_e32 v54, v56, v54
	v_add_f16_e32 v56, v62, v69
	v_pk_mul_f16 v60, v51, s30 op_sel_hi:[0,1]
	v_add_f16_e32 v49, v41, v49
	v_mul_u32_u24_e32 v51, 34, v3
	s_mov_b32 s31, 0xb5c83964
	v_fma_f16 v92, v48, s23, -v91
	v_fma_f16 v90, v59, s25, v90
	v_add_f16_e32 v54, v56, v54
	v_add_f16_e32 v56, v63, v70
	s_mov_b32 s25, 0x39e93b76
	v_add_f16_e32 v49, v42, v49
	v_add3_u32 v63, 0, v51, v0
	v_add_f16_e32 v84, v92, v84
	v_pk_mul_f16 v92, v52, s31 op_sel_hi:[0,1]
	s_mov_b32 s29, 0x2de839e9
	s_mov_b32 s31, 0xba62bb29
	ds_write_b16 v63, v49
	v_pk_fma_f16 v49, v10, s25, v58 op_sel_hi:[0,1,1]
	s_mov_b32 s16, 0x39643a62
	s_mov_b32 s28, 0xb836bb29
	;; [unrolled: 1-line block ×3, first 2 shown]
	v_pk_mul_f16 v62, v52, s31 op_sel_hi:[0,1]
	s_mov_b32 s33, 0xb1e1bbf7
	v_pk_add_f16 v49, v32, v49 op_sel_hi:[0,1]
	v_pk_fma_f16 v51, v7, s29, v60 op_sel_hi:[0,1,1]
	v_pk_mul_f16 v76, v53, s16 op_sel_hi:[0,1]
	s_mov_b32 s17, 0xba62b5c8
	v_pk_mul_f16 v85, v53, s28 op_sel_hi:[0,1]
	s_mov_b32 s28, 0x3bf7b1e1
	s_mov_b32 s31, 0xbbdd2de8
	v_pk_mul_f16 v53, v53, s33 op_sel_hi:[0,1]
	s_mov_b32 s34, 0x3836bbb2
	v_pk_add_f16 v49, v49, v51
	v_pk_fma_f16 v51, v43, s30, v62 op_sel_hi:[0,1,1]
	v_pk_mul_f16 v77, v55, s17 op_sel_hi:[0,1]
	s_mov_b32 s18, 0x3b29b1e1
	v_pk_mul_f16 v86, v55, s28 op_sel_hi:[0,1]
	s_mov_b32 s28, 0xb9643bf7
	s_mov_b32 s33, 0xbacdb461
	v_pk_mul_f16 v55, v55, s34 op_sel_hi:[0,1]
	s_mov_b32 s35, 0x3bb2ba62
	v_pk_add_f16 v49, v49, v51
	v_pk_fma_f16 v51, v44, s31, v53 op_sel_hi:[0,1,1]
	v_pk_mul_f16 v78, v57, s18 op_sel_hi:[0,1]
	s_mov_b32 s19, 0xbbb23964
	v_pk_mul_f16 v87, v57, s28 op_sel_hi:[0,1]
	s_mov_b32 s34, 0xb461b8d2
	;; [unrolled: 2-line block ×3, first 2 shown]
	v_pk_add_f16 v49, v51, v49
	v_pk_fma_f16 v51, v45, s33, v55 op_sel_hi:[0,1,1]
	v_pk_mul_f16 v79, v59, s19 op_sel_hi:[0,1]
	s_mov_b32 s20, 0x3bf7bbb2
	s_mov_b32 s35, 0x3722bacd
	v_pk_mul_f16 v59, v59, s36 op_sel_hi:[0,1]
	s_mov_b32 s37, 0x35c8b1e1
	v_pk_add_f16 v49, v51, v49
	v_pk_fma_f16 v51, v46, s34, v57 op_sel_hi:[0,1,1]
	v_mul_f16_e32 v71, 0x2de8, v47
	v_pk_mul_f16 v80, v61, s20 op_sel_hi:[0,1]
	s_mov_b32 s36, 0x3b76bbdd
	v_pk_mul_f16 v61, v61, s37 op_sel_hi:[0,1]
	v_pk_add_f16 v49, v51, v49
	v_pk_fma_f16 v51, v47, s35, v59 op_sel_hi:[0,1,1]
	s_mov_b32 s15, 0xb836bbf7
	v_mul_f16_e32 v65, 0x39e9, v48
	v_add_f16_e32 v54, v56, v54
	v_add_f16_e32 v56, v64, v71
	v_pk_add_f16 v49, v51, v49
	v_pk_fma_f16 v51, v48, s36, v61 op_sel_hi:[0,1,1]
	v_mul_f16_e32 v72, 0xbacd, v48
	v_pk_mul_f16 v75, v52, s15 op_sel_hi:[0,1]
	v_pk_add_f16 v49, v51, v49
	v_pack_b32_f16 v51, v56, v91
	v_pack_b32_f16 v52, v54, v65
	s_mov_b32 s37, 0x5040100
	v_pk_add_f16 v51, v51, v52
	v_perm_b32 v50, v90, v50, s37
	v_perm_b32 v52, v83, v72, s37
	s_mov_b32 s20, 0xb8d2b461
	v_pk_add_f16 v50, v50, v52
	s_mov_b32 s21, 0xb461bacd
	v_pk_add_f16 v50, v51, v50
	v_pk_fma_f16 v51, v10, s20, v81 op_sel_hi:[0,1,1]
	s_mov_b32 s22, 0x3b7639e9
	v_pk_add_f16 v51, v32, v51 op_sel_hi:[0,1]
	v_pk_fma_f16 v52, v7, s21, v82 op_sel_hi:[0,1,1]
	s_mov_b32 s23, 0xbacd3722
	v_pk_add_f16 v51, v51, v52
	v_pk_fma_f16 v52, v43, s22, v92 op_sel_hi:[0,1,1]
	s_mov_b32 s27, 0x2de8bbdd
	v_pk_add_f16 v51, v51, v52
	v_pk_fma_f16 v52, v44, s23, v85 op_sel_hi:[0,1,1]
	s_mov_b32 s26, 0x39e92de8
	v_pk_add_f16 v51, v52, v51
	v_pk_fma_f16 v52, v45, s27, v86 op_sel_hi:[0,1,1]
	s_mov_b32 s28, 0xbbdd3b76
	v_pk_add_f16 v51, v52, v51
	v_pk_fma_f16 v52, v46, s26, v87 op_sel_hi:[0,1,1]
	s_mov_b32 s24, 0x3722b8d2
	v_pk_add_f16 v51, v52, v51
	v_pk_fma_f16 v52, v47, s28, v88 op_sel_hi:[0,1,1]
	s_mov_b32 s8, 0xbbddbacd
	v_pk_add_f16 v51, v52, v51
	v_pk_fma_f16 v52, v48, s24, v89 op_sel_hi:[0,1,1]
	s_mov_b32 s9, 0x3b763722
	v_pk_add_f16 v51, v52, v51
	v_pk_fma_f16 v52, v10, s8, v73 op_sel_hi:[0,1,1]
	s_mov_b32 s14, 0xbacd2de8
	v_pk_add_f16 v52, v32, v52 op_sel_hi:[0,1]
	v_pk_fma_f16 v54, v7, s9, v74 op_sel_hi:[0,1,1]
	s_mov_b32 s15, 0x39e9b8d2
	v_pk_add_f16 v52, v52, v54
	v_pk_fma_f16 v54, v43, s14, v75 op_sel_hi:[0,1,1]
	s_mov_b32 s16, 0xb8d23b76
	v_pk_add_f16 v52, v52, v54
	;; [unrolled: 3-line block ×5, first 2 shown]
	v_pk_fma_f16 v54, v47, s18, v79 op_sel_hi:[0,1,1]
	v_pk_add_f16 v52, v54, v52
	v_pk_fma_f16 v54, v48, s19, v80 op_sel_hi:[0,1,1]
	v_pk_add_f16 v52, v54, v52
	ds_write_b128 v63, v[49:52] offset:2
	v_pk_fma_f16 v49, v10, s8, v73 op_sel_hi:[0,1,1] neg_lo:[0,0,1] neg_hi:[0,0,1]
	v_pk_add_f16 v49, v32, v49 op_sel_hi:[0,1]
	v_pk_fma_f16 v50, v7, s9, v74 op_sel_hi:[0,1,1] neg_lo:[0,0,1] neg_hi:[0,0,1]
	v_pk_add_f16 v49, v49, v50
	v_pk_fma_f16 v50, v43, s14, v75 op_sel_hi:[0,1,1] neg_lo:[0,0,1] neg_hi:[0,0,1]
	v_pk_add_f16 v49, v49, v50
	v_pk_fma_f16 v50, v44, s15, v76 op_sel_hi:[0,1,1] neg_lo:[0,0,1] neg_hi:[0,0,1]
	v_pk_add_f16 v49, v50, v49
	v_pk_fma_f16 v50, v45, s16, v77 op_sel_hi:[0,1,1] neg_lo:[0,0,1] neg_hi:[0,0,1]
	v_pk_add_f16 v49, v50, v49
	v_pk_fma_f16 v50, v46, s17, v78 op_sel_hi:[0,1,1] neg_lo:[0,0,1] neg_hi:[0,0,1]
	v_pk_add_f16 v49, v50, v49
	v_pk_fma_f16 v50, v47, s18, v79 op_sel_hi:[0,1,1] neg_lo:[0,0,1] neg_hi:[0,0,1]
	v_pk_add_f16 v49, v50, v49
	v_pk_fma_f16 v50, v48, s19, v80 op_sel_hi:[0,1,1] neg_lo:[0,0,1] neg_hi:[0,0,1]
	v_pk_add_f16 v49, v50, v49
	v_pk_fma_f16 v50, v10, s20, v81 op_sel_hi:[0,1,1] neg_lo:[0,0,1] neg_hi:[0,0,1]
	v_pk_fma_f16 v10, v10, s25, v58 op_sel_hi:[0,1,1] neg_lo:[0,0,1] neg_hi:[0,0,1]
	v_pk_add_f16 v50, v32, v50 op_sel_hi:[0,1]
	v_pk_fma_f16 v51, v7, s21, v82 op_sel_hi:[0,1,1] neg_lo:[0,0,1] neg_hi:[0,0,1]
	v_pk_add_f16 v10, v32, v10 op_sel_hi:[0,1]
	v_pk_fma_f16 v7, v7, s29, v60 op_sel_hi:[0,1,1] neg_lo:[0,0,1] neg_hi:[0,0,1]
	v_pk_add_f16 v50, v50, v51
	v_pk_fma_f16 v51, v43, s22, v92 op_sel_hi:[0,1,1] neg_lo:[0,0,1] neg_hi:[0,0,1]
	v_pk_add_f16 v7, v10, v7
	;; [unrolled: 2-line block ×13, first 2 shown]
	v_pk_add_f16 v7, v10, v7
	v_alignbit_b32 v46, v7, v7, 16
	v_alignbit_b32 v44, v50, v50, 16
	;; [unrolled: 1-line block ×3, first 2 shown]
	v_perm_b32 v45, v9, v84, s37
	ds_write_b128 v63, v[43:46] offset:18
.LBB0_12:
	s_or_b64 exec, exec, s[6:7]
	v_sub_f16_e32 v65, v4, v42
	s_mov_b32 s6, 0xbbf7bb29
	v_add_f16_e32 v50, v12, v25
	v_sub_f16_e32 v58, v8, v41
	s_mov_b32 s8, 0x2de83722
	v_pk_mul_f16 v42, v65, s6 op_sel_hi:[0,1]
	s_mov_b32 s6, 0xb1e1ba62
	v_add_f16_e32 v51, v13, v26
	v_sub_f16_e32 v59, v28, v40
	s_mov_b32 s9, 0xbbddb8d2
	v_pk_mul_f16 v43, v58, s6 op_sel_hi:[0,1]
	s_mov_b32 s6, 0x3bb231e1
	v_pk_fma_f16 v4, v50, s8, v42 op_sel_hi:[0,1,1]
	v_add_f16_e32 v52, v14, v27
	v_sub_f16_e32 v60, v29, v39
	s_mov_b32 s14, 0xb461bbdd
	v_pk_mul_f16 v44, v59, s6 op_sel_hi:[0,1]
	s_mov_b32 s6, 0x35c83bb2
	v_pk_add_f16 v4, v11, v4 op_sel_hi:[0,1]
	v_pk_fma_f16 v7, v51, s9, v43 op_sel_hi:[0,1,1]
	v_add_f16_e32 v53, v15, v24
	v_sub_f16_e32 v61, v30, v38
	s_mov_b32 s15, 0x3b76b461
	v_pk_mul_f16 v45, v60, s6 op_sel_hi:[0,1]
	s_mov_b32 s6, 0xbb293964
	v_pk_add_f16 v4, v4, v7
	v_pk_fma_f16 v7, v52, s14, v44 op_sel_hi:[0,1,1]
	v_add_f16_e32 v54, v16, v23
	v_sub_f16_e32 v62, v31, v37
	s_mov_b32 s16, 0x372239e9
	v_pk_mul_f16 v46, v61, s6 op_sel_hi:[0,1]
	s_mov_b32 s6, 0xb836b5c8
	v_pk_add_f16 v4, v4, v7
	;; [unrolled: 7-line block ×3, first 2 shown]
	v_pk_fma_f16 v7, v54, s16, v46 op_sel_hi:[0,1,1]
	v_add_f16_e32 v56, v18, v21
	s_mov_b32 s18, 0xb8d22de8
	v_pk_mul_f16 v48, v63, s6 op_sel_hi:[0,1]
	v_pk_add_f16 v4, v7, v4
	v_pk_fma_f16 v7, v55, s17, v47 op_sel_hi:[0,1,1]
	v_pk_add_f16 v4, v7, v4
	v_pk_fma_f16 v7, v56, s18, v48 op_sel_hi:[0,1,1]
	v_pk_add_f16 v10, v7, v4
	v_lshlrev_b32_e32 v7, 1, v3
	v_add3_u32 v4, 0, v0, v7
	v_add_u32_e32 v7, 0, v7
	v_sub_f16_e32 v64, v34, v35
	s_waitcnt lgkmcnt(0)
	s_barrier
	v_add_u32_e32 v8, v7, v0
	ds_read_u16 v35, v4
	ds_read_u16 v36, v8 offset:170
	ds_read_u16 v37, v8 offset:340
	ds_read_u16 v38, v8 offset:510
	ds_read_u16 v39, v8 offset:680
	ds_read_u16 v40, v8 offset:850
	ds_read_u16 v32, v8 offset:1190
	ds_read_u16 v41, v8 offset:1020
	ds_read_u16 v34, v8 offset:1360
	ds_read_u16 v33, v8 offset:1530
	ds_read_u16 v31, v8 offset:1700
	ds_read_u16 v30, v8 offset:1870
	ds_read_u16 v29, v8 offset:2040
	ds_read_u16 v28, v8 offset:2210
	s_mov_b32 s6, 0x3964b836
	v_add_f16_e32 v57, v19, v20
	s_mov_b32 s19, 0x39e9bacd
	v_pk_mul_f16 v49, v64, s6 op_sel_hi:[0,1]
	v_pk_fma_f16 v66, v57, s19, v49 op_sel_hi:[0,1,1]
	v_pk_add_f16 v10, v66, v10
	s_waitcnt lgkmcnt(0)
	s_barrier
	s_and_saveexec_b64 s[6:7], s[2:3]
	s_cbranch_execz .LBB0_14
; %bb.13:
	s_mov_b32 s2, 0x5040100
	v_perm_b32 v67, v11, v11, s2
	v_add_f16_e32 v11, v11, v12
	v_add_f16_e32 v11, v11, v13
	;; [unrolled: 1-line block ×13, first 2 shown]
	v_pack_b32_f16 v65, v65, v65
	v_add_f16_e32 v11, v11, v27
	s_mov_b32 s3, 0xb964b5c8
	v_pack_b32_f16 v66, v50, v50
	v_pack_b32_f16 v58, v58, v58
	v_pk_mul_f16 v50, v50, s8 op_sel_hi:[0,1]
	v_add_f16_e32 v11, v26, v11
	s_mov_b32 s2, 0x39e93b76
	v_pk_mul_f16 v12, v65, s3
	s_mov_b32 s8, 0xbbf7b964
	v_pack_b32_f16 v68, v51, v51
	v_add_f16_e32 v15, v25, v11
	v_pk_fma_f16 v11, v66, s2, v12 neg_lo:[0,0,1] neg_hi:[0,0,1]
	s_mov_b32 s3, 0x2de839e9
	v_pk_mul_f16 v13, v58, s8
	v_pack_b32_f16 v59, v59, v59
	v_pk_mul_f16 v51, v51, s9 op_sel_hi:[0,1]
	v_pk_add_f16 v11, v67, v11
	v_pk_fma_f16 v14, v68, s3, v13 neg_lo:[0,0,1] neg_hi:[0,0,1]
	s_mov_b32 s9, 0xba62bb29
	v_pack_b32_f16 v69, v52, v52
	v_pk_add_f16 v11, v11, v14
	s_mov_b32 s8, 0xb8d23722
	v_pk_mul_f16 v14, v59, s9
	v_pack_b32_f16 v60, v60, v60
	v_pk_mul_f16 v52, v52, s14 op_sel_hi:[0,1]
	v_pk_fma_f16 v16, v69, s8, v14 neg_lo:[0,0,1] neg_hi:[0,0,1]
	s_mov_b32 s14, 0xb1e1bbf7
	v_pack_b32_f16 v70, v53, v53
	v_pk_add_f16 v11, v11, v16
	s_mov_b32 s9, 0xbbdd2de8
	v_pk_mul_f16 v16, v60, s14
	v_pack_b32_f16 v61, v61, v61
	v_pk_mul_f16 v53, v53, s15 op_sel_hi:[0,1]
	v_pk_fma_f16 v17, v70, s9, v16 neg_lo:[0,0,1] neg_hi:[0,0,1]
	s_mov_b32 s15, 0x3836bbb2
	v_pack_b32_f16 v71, v54, v54
	v_pk_add_f16 v11, v17, v11
	s_mov_b32 s14, 0xbacdb461
	v_pk_mul_f16 v17, v61, s15
	v_pk_fma_f16 v12, v66, s2, v12
	v_pack_b32_f16 v62, v62, v62
	v_pk_mul_f16 v54, v54, s16 op_sel_hi:[0,1]
	v_pk_fma_f16 v18, v71, s14, v17 neg_lo:[0,0,1] neg_hi:[0,0,1]
	s_mov_b32 s16, 0x3bb2ba62
	v_pk_add_f16 v12, v67, v12
	v_pk_fma_f16 v13, v68, s3, v13
	v_pack_b32_f16 v72, v55, v55
	v_pk_add_f16 v11, v18, v11
	s_mov_b32 s15, 0xb461b8d2
	v_pk_mul_f16 v18, v62, s16
	v_pk_add_f16 v12, v12, v13
	v_pk_fma_f16 v13, v69, s8, v14
	v_pack_b32_f16 v63, v63, v63
	v_pk_mul_f16 v55, v55, s17 op_sel_hi:[0,1]
	v_pk_fma_f16 v19, v72, s15, v18 neg_lo:[0,0,1] neg_hi:[0,0,1]
	s_mov_b32 s17, 0x3b29b836
	v_pk_add_f16 v12, v12, v13
	v_pk_fma_f16 v13, v70, s9, v16
	v_pack_b32_f16 v73, v56, v56
	v_pk_add_f16 v11, v19, v11
	s_mov_b32 s16, 0x3722bacd
	v_pk_mul_f16 v19, v63, s17
	v_pk_add_f16 v12, v13, v12
	;; [unrolled: 12-line block ×3, first 2 shown]
	v_pk_fma_f16 v13, v73, s16, v19
	v_pk_add_f16 v12, v13, v12
	v_pk_fma_f16 v13, v74, s17, v20
	v_pk_add_f16 v16, v13, v12
	v_pk_add_f16 v12, v50, v42 neg_lo:[0,1] neg_hi:[0,1]
	v_pk_add_f16 v12, v67, v12
	v_pk_add_f16 v13, v51, v43 neg_lo:[0,1] neg_hi:[0,1]
	;; [unrolled: 2-line block ×6, first 2 shown]
	v_pk_mul_f16 v57, v57, s19 op_sel_hi:[0,1]
	v_pk_add_f16 v12, v13, v12
	v_pk_add_f16 v13, v56, v48 neg_lo:[0,1] neg_hi:[0,1]
	s_mov_b32 s3, 0xba62bbb2
	v_pk_add_f16 v12, v13, v12
	v_pk_add_f16 v13, v57, v49 neg_lo:[0,1] neg_hi:[0,1]
	s_mov_b32 s2, 0xb8d2b461
	v_pk_mul_f16 v14, v65, s3
	s_mov_b32 s8, 0x3bb23836
	v_pk_add_f16 v12, v13, v12
	v_pk_fma_f16 v13, v66, s2, v14 neg_lo:[0,0,1] neg_hi:[0,0,1]
	s_mov_b32 s3, 0xb461bacd
	v_pk_mul_f16 v17, v58, s8
	v_pk_add_f16 v13, v67, v13
	v_pk_fma_f16 v18, v68, s3, v17 neg_lo:[0,0,1] neg_hi:[0,0,1]
	s_mov_b32 s9, 0xb5c83964
	v_pk_add_f16 v13, v13, v18
	s_mov_b32 s8, 0x3b7639e9
	v_pk_mul_f16 v18, v59, s9
	v_pk_fma_f16 v19, v69, s8, v18 neg_lo:[0,0,1] neg_hi:[0,0,1]
	s_mov_b32 s14, 0xb836bb29
	v_pk_add_f16 v13, v13, v19
	s_mov_b32 s9, 0xbacd3722
	v_pk_mul_f16 v19, v60, s14
	v_pk_fma_f16 v21, v74, s17, v20 neg_lo:[0,0,1] neg_hi:[0,0,1]
	v_pk_fma_f16 v20, v70, s9, v19 neg_lo:[0,0,1] neg_hi:[0,0,1]
	s_mov_b32 s15, 0x3bf7b1e1
	v_pk_add_f16 v13, v20, v13
	s_mov_b32 s14, 0x2de8bbdd
	v_pk_mul_f16 v20, v61, s15
	v_pk_fma_f16 v14, v66, s2, v14
	v_pk_add_f16 v11, v21, v11
	v_pk_fma_f16 v21, v71, s14, v20 neg_lo:[0,0,1] neg_hi:[0,0,1]
	s_mov_b32 s16, 0xb9643bf7
	v_pk_add_f16 v14, v67, v14
	v_pk_fma_f16 v17, v68, s3, v17
	v_pk_add_f16 v13, v21, v13
	s_mov_b32 s15, 0x39e92de8
	v_pk_mul_f16 v21, v62, s16
	v_pk_add_f16 v14, v14, v17
	v_pk_fma_f16 v17, v69, s8, v18
	v_pk_fma_f16 v22, v72, s15, v21 neg_lo:[0,0,1] neg_hi:[0,0,1]
	s_mov_b32 s17, 0xb1e1b5c8
	v_pk_add_f16 v14, v14, v17
	v_pk_fma_f16 v17, v70, s9, v19
	v_pk_add_f16 v13, v22, v13
	s_mov_b32 s16, 0xbbdd3b76
	v_pk_mul_f16 v22, v63, s17
	v_pk_add_f16 v14, v17, v14
	v_pk_fma_f16 v17, v71, s14, v20
	;; [unrolled: 9-line block ×3, first 2 shown]
	s_mov_b32 s3, 0xb1e1b836
	v_pk_add_f16 v14, v17, v14
	v_pk_fma_f16 v17, v74, s17, v23
	s_mov_b32 s2, 0xbbddbacd
	v_pk_mul_f16 v18, v65, s3
	s_mov_b32 s8, 0x35c83b29
	v_pk_add_f16 v17, v17, v14
	v_pk_fma_f16 v14, v66, s2, v18 neg_lo:[0,0,1] neg_hi:[0,0,1]
	s_mov_b32 s3, 0x3b763722
	v_pk_mul_f16 v19, v58, s8
	v_pk_add_f16 v14, v67, v14
	v_pk_fma_f16 v20, v68, s3, v19 neg_lo:[0,0,1] neg_hi:[0,0,1]
	s_mov_b32 s9, 0xb836bbf7
	v_pk_add_f16 v14, v14, v20
	s_mov_b32 s8, 0xbacd2de8
	v_pk_mul_f16 v20, v59, s9
	v_pk_fma_f16 v21, v69, s8, v20 neg_lo:[0,0,1] neg_hi:[0,0,1]
	s_mov_b32 s14, 0x39643a62
	v_pk_add_f16 v14, v14, v21
	s_mov_b32 s9, 0x39e9b8d2
	v_pk_mul_f16 v21, v60, s14
	;; [unrolled: 5-line block ×3, first 2 shown]
	v_pk_fma_f16 v18, v66, s2, v18
	v_pk_fma_f16 v24, v74, s17, v23 neg_lo:[0,0,1] neg_hi:[0,0,1]
	v_pk_fma_f16 v23, v71, s14, v22 neg_lo:[0,0,1] neg_hi:[0,0,1]
	s_mov_b32 s16, 0x3b29b1e1
	v_pk_add_f16 v18, v67, v18
	v_pk_fma_f16 v19, v68, s3, v19
	v_pk_add_f16 v14, v23, v14
	s_mov_b32 s15, 0x3722bbdd
	v_pk_mul_f16 v23, v62, s16
	v_pk_add_f16 v18, v18, v19
	v_pk_fma_f16 v19, v69, s8, v20
	v_pk_add_f16 v13, v24, v13
	v_pk_fma_f16 v24, v72, s15, v23 neg_lo:[0,0,1] neg_hi:[0,0,1]
	s_mov_b32 s17, 0xbbb23964
	v_pk_add_f16 v18, v18, v19
	v_pk_fma_f16 v19, v70, s9, v21
	v_pk_add_f16 v14, v24, v14
	s_mov_b32 s16, 0xb46139e9
	v_pk_mul_f16 v24, v63, s17
	v_pk_add_f16 v18, v19, v18
	v_pk_fma_f16 v19, v71, s14, v22
	v_pk_fma_f16 v25, v73, s16, v24 neg_lo:[0,0,1] neg_hi:[0,0,1]
	s_mov_b32 s18, 0x3bf7bbb2
	v_pk_add_f16 v18, v19, v18
	v_pk_fma_f16 v19, v72, s15, v23
	v_pk_add_f16 v14, v25, v14
	s_mov_b32 s17, 0x2de8b461
	v_pk_mul_f16 v25, v64, s18
	v_pk_add_f16 v18, v19, v18
	v_pk_fma_f16 v19, v73, s16, v24
	v_pk_add_f16 v18, v19, v18
	v_pk_fma_f16 v19, v74, s17, v25
	v_pk_fma_f16 v26, v74, s17, v25 neg_lo:[0,0,1] neg_hi:[0,0,1]
	v_pk_add_f16 v18, v19, v18
	v_lshlrev_b32_e32 v19, 5, v3
	v_pk_add_f16 v14, v26, v14
	v_add3_u32 v7, v7, v19, v0
	ds_write_b16 v7, v15
	ds_write_b128 v7, v[11:14] offset:2
	v_alignbit_b32 v11, v18, v18, 16
	v_alignbit_b32 v12, v17, v17, 16
	;; [unrolled: 1-line block ×4, first 2 shown]
	ds_write_b128 v7, v[11:14] offset:18
.LBB0_14:
	s_or_b64 exec, exec, s[6:7]
	s_load_dwordx2 s[2:3], s[4:5], 0x0
	s_movk_i32 s4, 0xf1
	v_mul_lo_u16_sdwa v14, v3, s4 dst_sel:DWORD dst_unused:UNUSED_PAD src0_sel:BYTE_0 src1_sel:DWORD
	v_lshrrev_b16_e32 v21, 12, v14
	v_add_u32_e32 v7, 0x55, v3
	v_mul_lo_u16_e32 v14, 17, v21
	v_sub_u16_e32 v22, v3, v14
	v_mul_lo_u16_sdwa v14, v7, s4 dst_sel:DWORD dst_unused:UNUSED_PAD src0_sel:BYTE_0 src1_sel:DWORD
	v_lshrrev_b16_e32 v23, 12, v14
	v_mul_lo_u16_e32 v14, 17, v23
	v_sub_u16_e32 v24, v7, v14
	v_add_u16_e32 v14, 0xaa, v3
	v_mul_lo_u16_sdwa v18, v14, s4 dst_sel:DWORD dst_unused:UNUSED_PAD src0_sel:BYTE_0 src1_sel:DWORD
	v_lshrrev_b16_e32 v25, 12, v18
	v_add_u32_e32 v11, 0xff, v3
	v_mul_lo_u16_e32 v18, 17, v25
	s_mov_b32 s4, 0xf0f1
	v_sub_u16_e32 v26, v14, v18
	v_mul_u32_u24_sdwa v18, v11, s4 dst_sel:DWORD dst_unused:UNUSED_PAD src0_sel:WORD_0 src1_sel:DWORD
	v_lshrrev_b32_e32 v27, 20, v18
	v_add_u32_e32 v12, 0x154, v3
	v_mul_lo_u16_e32 v18, 17, v27
	v_sub_u16_e32 v58, v11, v18
	v_mul_u32_u24_sdwa v18, v12, s4 dst_sel:DWORD dst_unused:UNUSED_PAD src0_sel:WORD_0 src1_sel:DWORD
	v_lshrrev_b32_e32 v59, 20, v18
	v_add_u32_e32 v13, 0x1a9, v3
	v_mul_lo_u16_e32 v18, 17, v59
	;; [unrolled: 5-line block ×3, first 2 shown]
	v_sub_u16_e32 v62, v13, v12
	v_mul_u32_u24_sdwa v12, v15, s4 dst_sel:DWORD dst_unused:UNUSED_PAD src0_sel:WORD_0 src1_sel:DWORD
	v_lshrrev_b32_e32 v63, 20, v12
	v_mov_b32_e32 v16, 2
	v_mul_lo_u16_e32 v12, 17, v63
	v_lshlrev_b32_sdwa v17, v16, v22 dst_sel:DWORD dst_unused:UNUSED_PAD src0_sel:DWORD src1_sel:BYTE_0
	v_sub_u16_e32 v64, v15, v12
	s_waitcnt lgkmcnt(0)
	s_barrier
	v_lshlrev_b32_sdwa v19, v16, v24 dst_sel:DWORD dst_unused:UNUSED_PAD src0_sel:DWORD src1_sel:BYTE_0
	v_lshlrev_b32_sdwa v16, v16, v26 dst_sel:DWORD dst_unused:UNUSED_PAD src0_sel:DWORD src1_sel:BYTE_0
	v_lshlrev_b32_e32 v11, 2, v58
	v_lshlrev_b32_e32 v20, 2, v60
	v_lshlrev_b32_e32 v13, 2, v62
	v_lshlrev_b32_e32 v15, 2, v64
	global_load_dword v50, v17, s[12:13]
	global_load_dword v48, v19, s[12:13]
	;; [unrolled: 1-line block ×7, first 2 shown]
	ds_read_u16 v49, v4
	ds_read_u16 v47, v8 offset:170
	ds_read_u16 v45, v8 offset:340
	ds_read_u16 v43, v8 offset:510
	ds_read_u16 v19, v8 offset:680
	ds_read_u16 v13, v8 offset:850
	ds_read_u16 v56, v8 offset:1190
	ds_read_u16 v15, v8 offset:1020
	ds_read_u16 v57, v8 offset:1360
	ds_read_u16 v55, v8 offset:1530
	ds_read_u16 v54, v8 offset:1700
	ds_read_u16 v53, v8 offset:1870
	ds_read_u16 v52, v8 offset:2040
	ds_read_u16 v51, v8 offset:2210
	s_movk_i32 s4, 0x44
	v_mad_u32_u24 v21, v21, s4, 0
	s_waitcnt vmcnt(0) lgkmcnt(0)
	s_barrier
	v_cmp_gt_u32_e32 vcc, s4, v3
	v_mul_f16_sdwa v11, v56, v50 dst_sel:DWORD dst_unused:UNUSED_PAD src0_sel:DWORD src1_sel:WORD_1
	v_mul_f16_sdwa v16, v57, v48 dst_sel:DWORD dst_unused:UNUSED_PAD src0_sel:DWORD src1_sel:WORD_1
	v_fma_f16 v16, v34, v48, v16
	v_mul_f16_sdwa v20, v54, v44 dst_sel:DWORD dst_unused:UNUSED_PAD src0_sel:DWORD src1_sel:WORD_1
	v_fma_f16 v11, v32, v50, v11
	;; [unrolled: 2-line block ×3, first 2 shown]
	v_sub_f16_e32 v69, v36, v16
	v_sub_f16_e32 v16, v40, v66
	v_mul_f16_sdwa v65, v53, v42 dst_sel:DWORD dst_unused:UNUSED_PAD src0_sel:DWORD src1_sel:WORD_1
	v_fma_f16 v20, v31, v44, v20
	v_sub_f16_e32 v68, v35, v11
	v_fma_f16 v11, v40, 2.0, -v16
	v_mov_b32_e32 v40, 1
	v_fma_f16 v65, v30, v42, v65
	v_sub_f16_e32 v71, v38, v20
	v_lshlrev_b32_sdwa v22, v40, v22 dst_sel:DWORD dst_unused:UNUSED_PAD src0_sel:DWORD src1_sel:BYTE_0
	v_mul_f16_sdwa v17, v55, v46 dst_sel:DWORD dst_unused:UNUSED_PAD src0_sel:DWORD src1_sel:WORD_1
	v_mul_f16_sdwa v67, v51, v12 dst_sel:DWORD dst_unused:UNUSED_PAD src0_sel:DWORD src1_sel:WORD_1
	v_fma_f16 v72, v38, 2.0, -v71
	v_sub_f16_e32 v65, v39, v65
	v_add3_u32 v38, v21, v22, v0
	v_mad_u32_u24 v21, v23, s4, 0
	v_lshlrev_b32_sdwa v22, v40, v24 dst_sel:DWORD dst_unused:UNUSED_PAD src0_sel:DWORD src1_sel:BYTE_0
	v_fma_f16 v17, v33, v46, v17
	v_fma_f16 v67, v28, v12, v67
	v_fma_f16 v73, v39, 2.0, -v65
	v_add3_u32 v39, v21, v22, v0
	v_mad_u32_u24 v21, v25, s4, 0
	v_lshlrev_b32_sdwa v22, v40, v26 dst_sel:DWORD dst_unused:UNUSED_PAD src0_sel:DWORD src1_sel:BYTE_0
	v_sub_f16_e32 v70, v37, v17
	v_sub_f16_e32 v17, v41, v67
	v_add3_u32 v40, v21, v22, v0
	v_mad_u32_u24 v21, v27, s4, 0
	v_lshlrev_b32_e32 v22, 1, v58
	v_fma_f16 v20, v41, 2.0, -v17
	v_add3_u32 v41, v21, v22, v0
	v_mad_u32_u24 v21, v59, s4, 0
	v_lshlrev_b32_e32 v22, 1, v60
	v_add3_u32 v58, v21, v22, v0
	v_mad_u32_u24 v21, v61, s4, 0
	v_lshlrev_b32_e32 v22, 1, v62
	;; [unrolled: 3-line block ×3, first 2 shown]
	v_fma_f16 v35, v35, 2.0, -v68
	v_fma_f16 v36, v36, 2.0, -v69
	;; [unrolled: 1-line block ×3, first 2 shown]
	v_add3_u32 v60, v21, v22, v0
	ds_write_b16 v38, v35
	ds_write_b16 v38, v68 offset:34
	ds_write_b16 v39, v36
	ds_write_b16 v39, v69 offset:34
	;; [unrolled: 2-line block ×7, first 2 shown]
	s_waitcnt lgkmcnt(0)
	s_barrier
	ds_read_u16 v22, v4
	ds_read_u16 v23, v8 offset:1598
	ds_read_u16 v27, v8 offset:1428
	;; [unrolled: 1-line block ×9, first 2 shown]
	s_and_saveexec_b64 s[4:5], vcc
	s_cbranch_execz .LBB0_16
; %bb.15:
	ds_read_u16 v11, v8 offset:340
	ds_read_u16 v16, v8 offset:816
	;; [unrolled: 1-line block ×5, first 2 shown]
.LBB0_16:
	s_or_b64 exec, exec, s[4:5]
	v_mul_f16_sdwa v32, v32, v50 dst_sel:DWORD dst_unused:UNUSED_PAD src0_sel:DWORD src1_sel:WORD_1
	v_fma_f16 v32, v56, v50, -v32
	v_mul_f16_sdwa v34, v34, v48 dst_sel:DWORD dst_unused:UNUSED_PAD src0_sel:DWORD src1_sel:WORD_1
	v_mul_f16_sdwa v33, v33, v46 dst_sel:DWORD dst_unused:UNUSED_PAD src0_sel:DWORD src1_sel:WORD_1
	;; [unrolled: 1-line block ×6, first 2 shown]
	v_fma_f16 v34, v57, v48, -v34
	v_fma_f16 v33, v55, v46, -v33
	;; [unrolled: 1-line block ×6, first 2 shown]
	v_sub_f16_e32 v42, v49, v32
	v_fma_f16 v44, v49, 2.0, -v42
	v_sub_f16_e32 v34, v47, v34
	v_sub_f16_e32 v33, v45, v33
	v_sub_f16_e32 v31, v43, v31
	v_sub_f16_e32 v30, v19, v30
	v_sub_f16_e32 v28, v13, v18
	v_sub_f16_e32 v29, v15, v29
	v_fma_f16 v46, v47, 2.0, -v34
	v_fma_f16 v45, v45, 2.0, -v33
	;; [unrolled: 1-line block ×6, first 2 shown]
	s_waitcnt lgkmcnt(0)
	s_barrier
	ds_write_b16 v38, v44
	ds_write_b16 v38, v42 offset:34
	ds_write_b16 v39, v46
	ds_write_b16 v39, v34 offset:34
	;; [unrolled: 2-line block ×7, first 2 shown]
	s_waitcnt lgkmcnt(0)
	s_barrier
	ds_read_u16 v15, v4
	ds_read_u16 v30, v8 offset:1598
	ds_read_u16 v34, v8 offset:1428
	;; [unrolled: 1-line block ×9, first 2 shown]
	s_and_saveexec_b64 s[4:5], vcc
	s_cbranch_execz .LBB0_18
; %bb.17:
	ds_read_u16 v12, v8 offset:340
	ds_read_u16 v28, v8 offset:816
	;; [unrolled: 1-line block ×5, first 2 shown]
.LBB0_18:
	s_or_b64 exec, exec, s[4:5]
	s_movk_i32 s4, 0xf1
	v_mul_lo_u16_sdwa v18, v3, s4 dst_sel:DWORD dst_unused:UNUSED_PAD src0_sel:BYTE_0 src1_sel:DWORD
	v_lshrrev_b16_e32 v56, 13, v18
	v_mul_lo_u16_e32 v18, 34, v56
	v_sub_u16_e32 v57, v3, v18
	v_mov_b32_e32 v42, 4
	v_lshlrev_b32_sdwa v18, v42, v57 dst_sel:DWORD dst_unused:UNUSED_PAD src0_sel:DWORD src1_sel:BYTE_0
	global_load_dwordx4 v[44:47], v18, s[12:13] offset:68
	v_mul_lo_u16_sdwa v18, v7, s4 dst_sel:DWORD dst_unused:UNUSED_PAD src0_sel:BYTE_0 src1_sel:DWORD
	v_lshrrev_b16_e32 v58, 13, v18
	v_mul_lo_u16_e32 v18, 34, v58
	v_sub_u16_e32 v59, v7, v18
	v_lshlrev_b32_sdwa v18, v42, v59 dst_sel:DWORD dst_unused:UNUSED_PAD src0_sel:DWORD src1_sel:BYTE_0
	global_load_dwordx4 v[48:51], v18, s[12:13] offset:68
	v_mul_lo_u16_sdwa v18, v14, s4 dst_sel:DWORD dst_unused:UNUSED_PAD src0_sel:BYTE_0 src1_sel:DWORD
	v_lshrrev_b16_e32 v18, 13, v18
	v_mul_lo_u16_e32 v19, 34, v18
	v_sub_u16_e32 v19, v14, v19
	v_lshlrev_b32_sdwa v14, v42, v19 dst_sel:DWORD dst_unused:UNUSED_PAD src0_sel:DWORD src1_sel:BYTE_0
	global_load_dwordx4 v[52:55], v14, s[12:13] offset:68
	s_mov_b32 s7, 0xbb9c
	s_movk_i32 s9, 0x3b9c
	s_mov_b32 s6, 0xb8b4
	s_movk_i32 s14, 0x38b4
	s_movk_i32 s8, 0x34f2
	;; [unrolled: 1-line block ×3, first 2 shown]
	s_waitcnt vmcnt(0) lgkmcnt(0)
	s_barrier
	v_mul_f16_sdwa v14, v40, v44 dst_sel:DWORD dst_unused:UNUSED_PAD src0_sel:DWORD src1_sel:WORD_1
	v_mul_f16_sdwa v43, v37, v44 dst_sel:DWORD dst_unused:UNUSED_PAD src0_sel:DWORD src1_sel:WORD_1
	;; [unrolled: 1-line block ×11, first 2 shown]
	v_fma_f16 v42, v37, v44, v14
	v_mul_f16_sdwa v75, v16, v52 dst_sel:DWORD dst_unused:UNUSED_PAD src0_sel:DWORD src1_sel:WORD_1
	v_mul_f16_sdwa v79, v17, v54 dst_sel:DWORD dst_unused:UNUSED_PAD src0_sel:DWORD src1_sel:WORD_1
	;; [unrolled: 1-line block ×4, first 2 shown]
	v_fma_f16 v37, v40, v44, -v43
	v_fma_f16 v43, v35, v45, v60
	v_fma_f16 v44, v27, v46, v62
	v_mul_f16_sdwa v61, v35, v45 dst_sel:DWORD dst_unused:UNUSED_PAD src0_sel:DWORD src1_sel:WORD_1
	v_mul_f16_sdwa v68, v31, v49 dst_sel:DWORD dst_unused:UNUSED_PAD src0_sel:DWORD src1_sel:WORD_1
	;; [unrolled: 1-line block ×8, first 2 shown]
	v_fma_f16 v40, v34, v46, -v63
	v_fma_f16 v46, v36, v47, v64
	v_fma_f16 v41, v41, v47, -v65
	v_fma_f16 v34, v26, v48, v66
	;; [unrolled: 2-line block ×3, first 2 shown]
	v_fma_f16 v25, v33, v51, -v73
	v_fma_f16 v26, v28, v52, -v75
	;; [unrolled: 1-line block ×3, first 2 shown]
	v_fma_f16 v33, v9, v55, v80
	v_fma_f16 v29, v10, v55, -v81
	v_add_f16_e32 v9, v22, v42
	v_add_f16_e32 v10, v43, v44
	v_mul_f16_sdwa v77, v20, v53 dst_sel:DWORD dst_unused:UNUSED_PAD src0_sel:DWORD src1_sel:WORD_1
	v_fma_f16 v39, v39, v45, -v61
	v_fma_f16 v35, v24, v49, v68
	v_fma_f16 v24, v31, v49, -v69
	v_fma_f16 v36, v23, v50, v70
	;; [unrolled: 2-line block ×3, first 2 shown]
	v_fma_f16 v30, v20, v53, v76
	v_sub_f16_e32 v16, v37, v41
	v_sub_f16_e32 v20, v42, v43
	;; [unrolled: 1-line block ×3, first 2 shown]
	v_add_f16_e32 v9, v9, v43
	v_fma_f16 v10, v10, -0.5, v22
	v_fma_f16 v27, v32, v53, -v77
	v_fma_f16 v32, v17, v54, v78
	v_sub_f16_e32 v17, v39, v40
	v_add_f16_e32 v47, v42, v46
	v_add_f16_e32 v20, v20, v45
	;; [unrolled: 1-line block ×3, first 2 shown]
	v_fma_f16 v45, v16, s7, v10
	v_fma_f16 v10, v16, s9, v10
	v_fma_f16 v22, v47, -0.5, v22
	v_add_f16_e32 v48, v9, v46
	v_fma_f16 v9, v17, s6, v45
	v_fma_f16 v10, v17, s14, v10
	v_fma_f16 v47, v17, s9, v22
	v_fma_f16 v49, v20, s8, v9
	v_fma_f16 v10, v20, s8, v10
	v_sub_f16_e32 v20, v43, v42
	v_sub_f16_e32 v45, v44, v46
	v_fma_f16 v9, v16, s6, v47
	v_add_f16_e32 v20, v20, v45
	v_fma_f16 v47, v20, s8, v9
	v_fma_f16 v9, v17, s7, v22
	;; [unrolled: 1-line block ×4, first 2 shown]
	v_add_f16_e32 v9, v21, v34
	v_add_f16_e32 v9, v9, v35
	;; [unrolled: 1-line block ×5, first 2 shown]
	v_fma_f16 v9, v9, -0.5, v21
	v_sub_f16_e32 v20, v14, v25
	v_fma_f16 v22, v20, s7, v9
	v_sub_f16_e32 v45, v24, v23
	v_sub_f16_e32 v50, v34, v35
	v_sub_f16_e32 v51, v38, v36
	v_fma_f16 v9, v20, s9, v9
	v_fma_f16 v22, v45, s6, v22
	v_add_f16_e32 v50, v50, v51
	v_fma_f16 v9, v45, s14, v9
	v_fma_f16 v22, v50, s8, v22
	;; [unrolled: 1-line block ×3, first 2 shown]
	v_add_f16_e32 v9, v34, v38
	v_fma_f16 v9, v9, -0.5, v21
	v_fma_f16 v21, v45, s9, v9
	v_sub_f16_e32 v51, v35, v34
	v_sub_f16_e32 v52, v36, v38
	v_fma_f16 v9, v45, s7, v9
	v_add_f16_e32 v51, v51, v52
	v_fma_f16 v9, v20, s14, v9
	v_fma_f16 v21, v20, s6, v21
	;; [unrolled: 1-line block ×3, first 2 shown]
	v_mov_b32_e32 v9, 1
	v_fma_f16 v21, v51, s8, v21
	v_mad_u32_u24 v45, v56, s15, 0
	v_lshlrev_b32_sdwa v51, v9, v57 dst_sel:DWORD dst_unused:UNUSED_PAD src0_sel:DWORD src1_sel:BYTE_0
	v_add3_u32 v45, v45, v51, v0
	ds_write_b16 v45, v48
	ds_write_b16 v45, v49 offset:68
	ds_write_b16 v45, v47 offset:136
	;; [unrolled: 1-line block ×4, first 2 shown]
	v_mad_u32_u24 v10, v58, s15, 0
	v_lshlrev_b32_sdwa v16, v9, v59 dst_sel:DWORD dst_unused:UNUSED_PAD src0_sel:DWORD src1_sel:BYTE_0
	v_add3_u32 v47, v10, v16, v0
	ds_write_b16 v47, v17
	ds_write_b16 v47, v22 offset:68
	ds_write_b16 v47, v21 offset:136
	;; [unrolled: 1-line block ×4, first 2 shown]
	s_and_saveexec_b64 s[4:5], vcc
	s_cbranch_execz .LBB0_20
; %bb.19:
	v_add_f16_e32 v17, v31, v33
	v_sub_f16_e32 v10, v30, v31
	v_sub_f16_e32 v16, v32, v33
	v_fma_f16 v17, v17, -0.5, v11
	v_sub_f16_e32 v20, v27, v28
	v_add_f16_e32 v10, v10, v16
	v_sub_f16_e32 v16, v26, v29
	v_fma_f16 v21, v20, s7, v17
	v_fma_f16 v17, v20, s9, v17
	;; [unrolled: 1-line block ×6, first 2 shown]
	v_sub_f16_e32 v17, v31, v30
	v_sub_f16_e32 v22, v33, v32
	v_add_f16_e32 v17, v17, v22
	v_add_f16_e32 v22, v30, v32
	v_fma_f16 v22, v22, -0.5, v11
	v_fma_f16 v48, v16, s9, v22
	v_fma_f16 v16, v16, s7, v22
	v_add_f16_e32 v11, v11, v31
	v_fma_f16 v48, v20, s14, v48
	v_fma_f16 v16, v20, s6, v16
	v_add_f16_e32 v11, v11, v30
	;; [unrolled: 3-line block ×3, first 2 shown]
	v_mad_u32_u24 v17, v18, s15, 0
	v_lshlrev_b32_sdwa v9, v9, v19 dst_sel:DWORD dst_unused:UNUSED_PAD src0_sel:DWORD src1_sel:BYTE_0
	v_add_f16_e32 v11, v11, v33
	v_add3_u32 v9, v17, v9, v0
	ds_write_b16 v9, v11
	ds_write_b16 v9, v16 offset:68
	ds_write_b16 v9, v10 offset:136
	;; [unrolled: 1-line block ×4, first 2 shown]
.LBB0_20:
	s_or_b64 exec, exec, s[4:5]
	v_add_f16_e32 v9, v15, v37
	v_add_f16_e32 v9, v9, v39
	;; [unrolled: 1-line block ×5, first 2 shown]
	v_fma_f16 v9, v9, -0.5, v15
	v_sub_f16_e32 v10, v42, v46
	v_fma_f16 v11, v10, s9, v9
	v_sub_f16_e32 v16, v43, v44
	v_sub_f16_e32 v17, v37, v39
	;; [unrolled: 1-line block ×3, first 2 shown]
	v_fma_f16 v9, v10, s7, v9
	v_add_f16_e32 v17, v17, v20
	v_fma_f16 v9, v16, s6, v9
	v_fma_f16 v43, v17, s8, v9
	v_add_f16_e32 v9, v37, v41
	v_fma_f16 v11, v16, s14, v11
	v_fma_f16 v9, v9, -0.5, v15
	v_fma_f16 v42, v17, s8, v11
	v_fma_f16 v11, v16, s7, v9
	v_sub_f16_e32 v15, v39, v37
	v_sub_f16_e32 v17, v40, v41
	v_fma_f16 v9, v16, s9, v9
	v_add_f16_e32 v15, v15, v17
	v_fma_f16 v9, v10, s6, v9
	v_fma_f16 v39, v15, s8, v9
	v_add_f16_e32 v9, v13, v14
	v_add_f16_e32 v9, v9, v24
	v_add_f16_e32 v9, v9, v23
	v_add_f16_e32 v40, v9, v25
	v_add_f16_e32 v9, v24, v23
	v_fma_f16 v11, v10, s14, v11
	v_fma_f16 v9, v9, -0.5, v13
	v_sub_f16_e32 v10, v34, v38
	v_fma_f16 v37, v15, s8, v11
	v_fma_f16 v11, v10, s9, v9
	v_sub_f16_e32 v15, v35, v36
	v_sub_f16_e32 v16, v14, v24
	;; [unrolled: 1-line block ×3, first 2 shown]
	v_fma_f16 v9, v10, s7, v9
	v_add_f16_e32 v16, v16, v17
	v_fma_f16 v9, v15, s6, v9
	v_fma_f16 v35, v16, s8, v9
	v_add_f16_e32 v9, v14, v25
	v_fma_f16 v11, v15, s14, v11
	v_fma_f16 v9, v9, -0.5, v13
	v_fma_f16 v34, v16, s8, v11
	v_fma_f16 v11, v15, s7, v9
	v_sub_f16_e32 v13, v24, v14
	v_sub_f16_e32 v14, v23, v25
	v_fma_f16 v9, v15, s9, v9
	v_fma_f16 v11, v10, s14, v11
	v_add_f16_e32 v13, v13, v14
	v_fma_f16 v9, v10, s6, v9
	v_fma_f16 v36, v13, s8, v11
	;; [unrolled: 1-line block ×3, first 2 shown]
	s_waitcnt lgkmcnt(0)
	s_barrier
	ds_read_u16 v9, v4
	ds_read_u16 v10, v8 offset:1360
	ds_read_u16 v21, v8 offset:1190
	;; [unrolled: 1-line block ×13, first 2 shown]
	s_waitcnt lgkmcnt(0)
	s_barrier
	ds_write_b16 v45, v48
	ds_write_b16 v45, v42 offset:68
	ds_write_b16 v45, v37 offset:136
	;; [unrolled: 1-line block ×4, first 2 shown]
	ds_write_b16 v47, v40
	ds_write_b16 v47, v34 offset:68
	ds_write_b16 v47, v36 offset:136
	;; [unrolled: 1-line block ×4, first 2 shown]
	s_and_saveexec_b64 s[4:5], vcc
	s_cbranch_execz .LBB0_22
; %bb.21:
	v_add_f16_e32 v35, v27, v28
	v_fma_f16 v35, v35, -0.5, v12
	v_sub_f16_e32 v31, v31, v33
	s_movk_i32 s6, 0x3b9c
	v_fma_f16 v33, v31, s6, v35
	v_sub_f16_e32 v30, v30, v32
	s_movk_i32 s7, 0x38b4
	s_mov_b32 s9, 0xbb9c
	v_fma_f16 v32, v30, s7, v33
	v_sub_f16_e32 v33, v26, v27
	v_sub_f16_e32 v36, v29, v28
	v_fma_f16 v35, v31, s9, v35
	s_mov_b32 s14, 0xb8b4
	v_add_f16_e32 v33, v33, v36
	v_fma_f16 v35, v30, s14, v35
	v_fma_f16 v32, v33, s8, v32
	;; [unrolled: 1-line block ×3, first 2 shown]
	v_add_f16_e32 v35, v26, v29
	v_add_f16_e32 v34, v12, v26
	v_fma_f16 v12, v35, -0.5, v12
	v_add_f16_e32 v34, v34, v27
	v_fma_f16 v35, v30, s9, v12
	v_sub_f16_e32 v26, v27, v26
	v_sub_f16_e32 v27, v28, v29
	v_fma_f16 v12, v30, s6, v12
	v_fma_f16 v35, v31, s7, v35
	v_add_f16_e32 v26, v26, v27
	v_fma_f16 v12, v31, s14, v12
	v_fma_f16 v27, v26, s8, v35
	;; [unrolled: 1-line block ×3, first 2 shown]
	s_movk_i32 s6, 0x154
	v_mov_b32_e32 v26, 1
	v_add_f16_e32 v34, v34, v28
	v_mad_u32_u24 v18, v18, s6, 0
	v_lshlrev_b32_sdwa v19, v26, v19 dst_sel:DWORD dst_unused:UNUSED_PAD src0_sel:DWORD src1_sel:BYTE_0
	v_add_f16_e32 v34, v34, v29
	v_add3_u32 v0, v18, v19, v0
	ds_write_b16 v0, v34
	ds_write_b16 v0, v32 offset:68
	ds_write_b16 v0, v27 offset:136
	;; [unrolled: 1-line block ×4, first 2 shown]
.LBB0_22:
	s_or_b64 exec, exec, s[4:5]
	s_waitcnt lgkmcnt(0)
	s_barrier
	s_and_saveexec_b64 s[4:5], s[0:1]
	s_cbranch_execz .LBB0_24
; %bb.23:
	v_mul_u32_u24_e32 v0, 6, v7
	v_lshlrev_b32_e32 v0, 2, v0
	global_load_dwordx4 v[26:29], v0, s[12:13] offset:612
	global_load_dwordx2 v[18:19], v0, s[12:13] offset:628
	v_mul_u32_u24_e32 v30, 6, v3
	v_lshlrev_b32_e32 v48, 2, v30
	ds_read_u16 v36, v8 offset:1190
	ds_read_u16 v37, v8 offset:1020
	ds_read_u16 v38, v8 offset:850
	ds_read_u16 v39, v8 offset:680
	ds_read_u16 v40, v8 offset:510
	ds_read_u16 v41, v8 offset:340
	ds_read_u16 v42, v8 offset:2210
	ds_read_u16 v43, v8 offset:2040
	ds_read_u16 v44, v8 offset:1870
	ds_read_u16 v45, v8 offset:1700
	ds_read_u16 v46, v8 offset:1530
	ds_read_u16 v47, v8 offset:1360
	ds_read_u16 v8, v8 offset:170
	ds_read_u16 v4, v4
	global_load_dwordx4 v[30:33], v48, s[12:13] offset:612
	global_load_dwordx2 v[34:35], v48, s[12:13] offset:628
	v_mul_lo_u32 v0, s3, v5
	v_mul_lo_u32 v12, s2, v6
	v_mad_u64_u32 v[5:6], s[0:1], s2, v5, 0
	s_mov_b32 s1, 0xb574
	s_mov_b32 s3, 0xbcab
	v_add3_u32 v6, v6, v12, v0
	s_mov_b32 s4, 0xbb00
	s_movk_i32 s5, 0x3574
	s_mov_b32 s6, 0xb9e0
	s_movk_i32 s7, 0x39e0
	;; [unrolled: 2-line block ×3, first 2 shown]
	v_lshlrev_b64 v[5:6], 2, v[5:6]
	v_add_co_u32_e32 v5, vcc, s10, v5
	s_waitcnt vmcnt(3)
	v_lshrrev_b32_e32 v0, 16, v26
	v_lshrrev_b32_e32 v12, 16, v27
	;; [unrolled: 1-line block ×4, first 2 shown]
	v_mul_f16_e32 v50, v22, v26
	s_waitcnt vmcnt(2)
	v_lshrrev_b32_e32 v51, 16, v18
	v_lshrrev_b32_e32 v52, 16, v19
	v_mul_f16_e32 v56, v20, v27
	v_mul_f16_e32 v53, v24, v19
	;; [unrolled: 1-line block ×5, first 2 shown]
	s_waitcnt lgkmcnt(9)
	v_fma_f16 v50, v40, v0, v50
	v_fma_f16 v56, v38, v12, v56
	v_mul_f16_e32 v24, v24, v52
	v_mul_f16_e32 v0, v22, v0
	;; [unrolled: 1-line block ×6, first 2 shown]
	s_waitcnt lgkmcnt(7)
	v_fma_f16 v53, v42, v52, v53
	s_waitcnt lgkmcnt(3)
	v_fma_f16 v54, v46, v49, v54
	v_fma_f16 v55, v36, v48, v55
	;; [unrolled: 1-line block ×3, first 2 shown]
	v_fma_f16 v19, v42, v19, -v24
	v_fma_f16 v0, v40, v26, -v0
	;; [unrolled: 1-line block ×6, first 2 shown]
	v_sub_f16_e32 v20, v50, v53
	v_sub_f16_e32 v25, v54, v55
	;; [unrolled: 1-line block ×3, first 2 shown]
	v_add_f16_e32 v23, v50, v53
	v_add_f16_e32 v26, v56, v57
	v_add_f16_e32 v29, v0, v19
	v_add_f16_e32 v38, v12, v18
	v_sub_f16_e32 v0, v0, v19
	v_sub_f16_e32 v19, v22, v21
	;; [unrolled: 1-line block ×3, first 2 shown]
	v_add_f16_e32 v24, v54, v55
	v_sub_f16_e32 v27, v20, v25
	v_sub_f16_e32 v28, v25, v48
	v_add_f16_e32 v25, v25, v48
	v_add_f16_e32 v36, v22, v21
	;; [unrolled: 1-line block ×4, first 2 shown]
	v_sub_f16_e32 v21, v0, v19
	v_sub_f16_e32 v18, v19, v12
	v_add_f16_e32 v19, v19, v12
	v_sub_f16_e32 v40, v23, v24
	v_sub_f16_e32 v42, v24, v26
	v_add_f16_e32 v25, v20, v25
	;; [unrolled: 3-line block ×3, first 2 shown]
	v_add_f16_e32 v24, v24, v53
	v_add_f16_e32 v19, v0, v19
	v_sub_f16_e32 v20, v48, v20
	v_sub_f16_e32 v0, v12, v0
	v_mul_f16_e32 v28, 0x3846, v28
	v_mul_f16_e32 v50, 0x3a52, v40
	;; [unrolled: 1-line block ×5, first 2 shown]
	s_waitcnt lgkmcnt(1)
	v_add_f16_e32 v8, v8, v36
	v_add_f16_e32 v17, v17, v24
	v_mul_f16_e32 v18, 0x3846, v18
	v_mul_f16_e32 v48, 0xbb00, v20
	v_sub_f16_e32 v29, v38, v29
	v_sub_f16_e32 v23, v26, v23
	v_mul_f16_e32 v12, 0xbb00, v0
	v_fma_f16 v51, v27, s1, v28
	v_fma_f16 v36, v36, s3, v8
	;; [unrolled: 1-line block ×4, first 2 shown]
	v_fma_f16 v27, v27, s5, -v48
	v_fma_f16 v38, v29, s6, -v52
	;; [unrolled: 1-line block ×8, first 2 shown]
	v_fma_f16 v44, v44, s2, v46
	v_fma_f16 v40, v40, s2, v42
	;; [unrolled: 1-line block ×3, first 2 shown]
	v_add_f16_e32 v38, v38, v36
	v_add_f16_e32 v26, v26, v24
	v_fma_f16 v12, v19, s0, v12
	v_add_f16_e32 v29, v29, v36
	v_fma_f16 v20, v25, s0, v20
	v_fma_f16 v0, v19, s0, v0
	v_add_f16_e32 v18, v18, v24
	v_fma_f16 v49, v25, s0, v51
	v_add_f16_e32 v44, v44, v36
	v_add_f16_e32 v40, v40, v24
	v_fma_f16 v22, v19, s0, v22
	v_add_f16_e32 v48, v27, v38
	v_sub_f16_e32 v21, v26, v12
	v_sub_f16_e32 v25, v29, v20
	v_add_f16_e32 v19, v0, v18
	v_add_f16_e32 v20, v20, v29
	v_sub_f16_e32 v18, v18, v0
	v_sub_f16_e32 v23, v38, v27
	v_add_f16_e32 v12, v12, v26
	s_waitcnt vmcnt(1)
	v_lshrrev_b32_e32 v0, 16, v30
	v_lshrrev_b32_e32 v26, 16, v31
	;; [unrolled: 1-line block ×4, first 2 shown]
	v_mul_f16_e32 v29, v15, v30
	s_waitcnt vmcnt(0)
	v_lshrrev_b32_e32 v36, 16, v34
	v_lshrrev_b32_e32 v38, 16, v35
	v_add_f16_e32 v51, v49, v44
	v_sub_f16_e32 v53, v40, v22
	v_sub_f16_e32 v24, v44, v49
	v_add_f16_e32 v22, v22, v40
	v_fma_f16 v29, v41, v0, v29
	v_mul_f16_e32 v40, v16, v35
	v_mul_f16_e32 v44, v10, v33
	;; [unrolled: 1-line block ×11, first 2 shown]
	v_fma_f16 v16, v43, v35, -v16
	v_fma_f16 v0, v41, v30, -v0
	;; [unrolled: 1-line block ×6, first 2 shown]
	v_fma_f16 v40, v43, v38, v40
	v_fma_f16 v46, v37, v27, v46
	;; [unrolled: 1-line block ×4, first 2 shown]
	v_add_f16_e32 v15, v0, v16
	v_add_f16_e32 v27, v10, v13
	;; [unrolled: 1-line block ×3, first 2 shown]
	v_sub_f16_e32 v0, v0, v16
	v_sub_f16_e32 v10, v10, v13
	;; [unrolled: 1-line block ×4, first 2 shown]
	v_fma_f16 v44, v47, v28, v44
	v_add_f16_e32 v29, v29, v40
	v_add_f16_e32 v36, v52, v54
	v_sub_f16_e32 v13, v0, v10
	v_sub_f16_e32 v14, v10, v11
	v_add_f16_e32 v10, v10, v11
	v_add_f16_e32 v33, v44, v46
	;; [unrolled: 1-line block ×4, first 2 shown]
	v_sub_f16_e32 v0, v11, v0
	v_sub_f16_e32 v34, v29, v33
	;; [unrolled: 1-line block ×3, first 2 shown]
	v_add_f16_e32 v33, v33, v38
	v_mul_f16_e32 v14, 0x3846, v14
	v_mul_f16_e32 v11, 0xbb00, v0
	v_add_f16_e32 v32, v15, v26
	v_mul_f16_e32 v37, 0x2b26, v37
	v_add_f16_e32 v9, v9, v33
	v_fma_f16 v16, v13, s1, v14
	v_sub_f16_e32 v29, v36, v29
	v_fma_f16 v11, v13, s5, -v11
	v_fma_f16 v0, v0, s4, -v14
	v_sub_f16_e32 v49, v44, v46
	v_sub_f16_e32 v55, v52, v54
	;; [unrolled: 1-line block ×4, first 2 shown]
	v_add_f16_e32 v27, v27, v32
	v_fma_f16 v33, v33, s3, v9
	v_fma_f16 v16, v10, s0, v16
	;; [unrolled: 1-line block ×4, first 2 shown]
	v_fma_f16 v10, v29, s7, -v37
	v_sub_f16_e32 v56, v49, v55
	v_mul_f16_e32 v30, 0x3a52, v28
	v_mul_f16_e32 v31, 0x2b26, v31
	s_waitcnt lgkmcnt(0)
	v_add_f16_e32 v32, v4, v27
	v_sub_f16_e32 v15, v26, v15
	v_add_f16_e32 v10, v10, v33
	v_sub_f16_e32 v50, v42, v49
	v_mul_f16_e32 v56, 0x3846, v56
	v_add_f16_e32 v49, v49, v55
	v_fma_f16 v28, v28, s2, v31
	v_fma_f16 v4, v27, s3, v32
	v_sub_f16_e32 v39, v55, v42
	v_fma_f16 v26, v15, s6, -v30
	v_fma_f16 v15, v15, s7, -v31
	v_add_f16_e32 v14, v0, v10
	v_sub_f16_e32 v10, v10, v0
	v_mov_b32_e32 v0, s11
	v_add_f16_e32 v49, v42, v49
	v_add_f16_e32 v27, v28, v4
	v_add_f16_e32 v26, v26, v4
	v_add_f16_e32 v4, v15, v4
	v_fma_f16 v15, v39, s4, -v56
	v_addc_co_u32_e32 v6, vcc, v0, v6, vcc
	v_lshlrev_b64 v[0:1], 2, v[1:2]
	v_fma_f16 v15, v49, s0, v15
	v_sub_f16_e32 v31, v4, v15
	v_add_f16_e32 v15, v15, v4
	v_mov_b32_e32 v4, 0
	v_add_co_u32_e32 v2, vcc, v5, v0
	v_addc_co_u32_e32 v5, vcc, v6, v1, vcc
	v_lshlrev_b64 v[0:1], 2, v[3:4]
	v_fma_f16 v57, v50, s1, v56
	v_mul_f16_e32 v35, 0x3a52, v34
	v_fma_f16 v34, v34, s2, v37
	v_mul_f16_e32 v40, 0xbb00, v39
	v_fma_f16 v57, v49, s0, v57
	v_add_f16_e32 v34, v34, v33
	v_fma_f16 v40, v50, s5, -v40
	v_fma_f16 v35, v29, s6, -v35
	v_add_co_u32_e32 v0, vcc, v2, v0
	v_add_f16_e32 v28, v57, v27
	v_sub_f16_e32 v38, v34, v16
	v_fma_f16 v40, v49, s0, v40
	v_add_f16_e32 v35, v35, v33
	v_sub_f16_e32 v27, v27, v57
	v_add_f16_e32 v16, v16, v34
	v_addc_co_u32_e32 v1, vcc, v5, v1, vcc
	v_pack_b32_f16 v2, v9, v32
	v_add_f16_e32 v30, v40, v26
	v_sub_f16_e32 v13, v35, v11
	v_sub_f16_e32 v26, v26, v40
	v_add_f16_e32 v11, v11, v35
	global_store_dword v[0:1], v2, off
	v_pack_b32_f16 v2, v16, v27
	global_store_dword v[0:1], v2, off offset:680
	v_pack_b32_f16 v2, v11, v26
	s_mov_b32 s0, 0xc0c0c0c1
	global_store_dword v[0:1], v2, off offset:1360
	v_pack_b32_f16 v2, v10, v15
	v_mul_hi_u32 v3, v7, s0
	global_store_dword v[0:1], v2, off offset:2040
	v_pack_b32_f16 v2, v14, v31
	global_store_dword v[0:1], v2, off offset:2720
	v_pack_b32_f16 v2, v13, v30
	;; [unrolled: 2-line block ×3, first 2 shown]
	global_store_dword v[0:1], v2, off offset:4080
	v_lshrrev_b32_e32 v2, 7, v3
	v_mul_u32_u24_e32 v3, 0x3fc, v2
	v_lshlrev_b64 v[2:3], 2, v[3:4]
	v_pack_b32_f16 v4, v17, v8
	v_add_co_u32_e32 v0, vcc, v0, v2
	v_addc_co_u32_e32 v1, vcc, v1, v3, vcc
	global_store_dword v[0:1], v4, off offset:340
	v_pack_b32_f16 v4, v22, v24
	global_store_dword v[0:1], v4, off offset:1020
	v_pack_b32_f16 v4, v12, v23
	;; [unrolled: 2-line block ×3, first 2 shown]
	s_movk_i32 s0, 0x154
	global_store_dword v[0:1], v4, off offset:2380
	v_pack_b32_f16 v4, v19, v25
	v_add_co_u32_e32 v2, vcc, s0, v0
	global_store_dword v[0:1], v4, off offset:3060
	v_pack_b32_f16 v4, v21, v48
	v_addc_co_u32_e32 v3, vcc, 0, v1, vcc
	global_store_dword v[0:1], v4, off offset:3740
	v_pack_b32_f16 v0, v53, v51
	global_store_dword v[2:3], v0, off offset:4080
.LBB0_24:
	s_endpgm
	.section	.rodata,"a",@progbits
	.p2align	6, 0x0
	.amdhsa_kernel fft_rtc_back_len1190_factors_17_2_5_7_wgs_255_tpt_85_halfLds_half_op_CI_CI_unitstride_sbrr_dirReg
		.amdhsa_group_segment_fixed_size 0
		.amdhsa_private_segment_fixed_size 0
		.amdhsa_kernarg_size 104
		.amdhsa_user_sgpr_count 6
		.amdhsa_user_sgpr_private_segment_buffer 1
		.amdhsa_user_sgpr_dispatch_ptr 0
		.amdhsa_user_sgpr_queue_ptr 0
		.amdhsa_user_sgpr_kernarg_segment_ptr 1
		.amdhsa_user_sgpr_dispatch_id 0
		.amdhsa_user_sgpr_flat_scratch_init 0
		.amdhsa_user_sgpr_private_segment_size 0
		.amdhsa_uses_dynamic_stack 0
		.amdhsa_system_sgpr_private_segment_wavefront_offset 0
		.amdhsa_system_sgpr_workgroup_id_x 1
		.amdhsa_system_sgpr_workgroup_id_y 0
		.amdhsa_system_sgpr_workgroup_id_z 0
		.amdhsa_system_sgpr_workgroup_info 0
		.amdhsa_system_vgpr_workitem_id 0
		.amdhsa_next_free_vgpr 93
		.amdhsa_next_free_sgpr 38
		.amdhsa_reserve_vcc 1
		.amdhsa_reserve_flat_scratch 0
		.amdhsa_float_round_mode_32 0
		.amdhsa_float_round_mode_16_64 0
		.amdhsa_float_denorm_mode_32 3
		.amdhsa_float_denorm_mode_16_64 3
		.amdhsa_dx10_clamp 1
		.amdhsa_ieee_mode 1
		.amdhsa_fp16_overflow 0
		.amdhsa_exception_fp_ieee_invalid_op 0
		.amdhsa_exception_fp_denorm_src 0
		.amdhsa_exception_fp_ieee_div_zero 0
		.amdhsa_exception_fp_ieee_overflow 0
		.amdhsa_exception_fp_ieee_underflow 0
		.amdhsa_exception_fp_ieee_inexact 0
		.amdhsa_exception_int_div_zero 0
	.end_amdhsa_kernel
	.text
.Lfunc_end0:
	.size	fft_rtc_back_len1190_factors_17_2_5_7_wgs_255_tpt_85_halfLds_half_op_CI_CI_unitstride_sbrr_dirReg, .Lfunc_end0-fft_rtc_back_len1190_factors_17_2_5_7_wgs_255_tpt_85_halfLds_half_op_CI_CI_unitstride_sbrr_dirReg
                                        ; -- End function
	.section	.AMDGPU.csdata,"",@progbits
; Kernel info:
; codeLenInByte = 11668
; NumSgprs: 42
; NumVgprs: 93
; ScratchSize: 0
; MemoryBound: 0
; FloatMode: 240
; IeeeMode: 1
; LDSByteSize: 0 bytes/workgroup (compile time only)
; SGPRBlocks: 5
; VGPRBlocks: 23
; NumSGPRsForWavesPerEU: 42
; NumVGPRsForWavesPerEU: 93
; Occupancy: 2
; WaveLimiterHint : 1
; COMPUTE_PGM_RSRC2:SCRATCH_EN: 0
; COMPUTE_PGM_RSRC2:USER_SGPR: 6
; COMPUTE_PGM_RSRC2:TRAP_HANDLER: 0
; COMPUTE_PGM_RSRC2:TGID_X_EN: 1
; COMPUTE_PGM_RSRC2:TGID_Y_EN: 0
; COMPUTE_PGM_RSRC2:TGID_Z_EN: 0
; COMPUTE_PGM_RSRC2:TIDIG_COMP_CNT: 0
	.type	__hip_cuid_95cf56a32b37c268,@object ; @__hip_cuid_95cf56a32b37c268
	.section	.bss,"aw",@nobits
	.globl	__hip_cuid_95cf56a32b37c268
__hip_cuid_95cf56a32b37c268:
	.byte	0                               ; 0x0
	.size	__hip_cuid_95cf56a32b37c268, 1

	.ident	"AMD clang version 19.0.0git (https://github.com/RadeonOpenCompute/llvm-project roc-6.4.0 25133 c7fe45cf4b819c5991fe208aaa96edf142730f1d)"
	.section	".note.GNU-stack","",@progbits
	.addrsig
	.addrsig_sym __hip_cuid_95cf56a32b37c268
	.amdgpu_metadata
---
amdhsa.kernels:
  - .args:
      - .actual_access:  read_only
        .address_space:  global
        .offset:         0
        .size:           8
        .value_kind:     global_buffer
      - .offset:         8
        .size:           8
        .value_kind:     by_value
      - .actual_access:  read_only
        .address_space:  global
        .offset:         16
        .size:           8
        .value_kind:     global_buffer
      - .actual_access:  read_only
        .address_space:  global
        .offset:         24
        .size:           8
        .value_kind:     global_buffer
      - .actual_access:  read_only
        .address_space:  global
        .offset:         32
        .size:           8
        .value_kind:     global_buffer
      - .offset:         40
        .size:           8
        .value_kind:     by_value
      - .actual_access:  read_only
        .address_space:  global
        .offset:         48
        .size:           8
        .value_kind:     global_buffer
      - .actual_access:  read_only
        .address_space:  global
        .offset:         56
        .size:           8
        .value_kind:     global_buffer
      - .offset:         64
        .size:           4
        .value_kind:     by_value
      - .actual_access:  read_only
        .address_space:  global
        .offset:         72
        .size:           8
        .value_kind:     global_buffer
      - .actual_access:  read_only
        .address_space:  global
        .offset:         80
        .size:           8
        .value_kind:     global_buffer
      - .actual_access:  read_only
        .address_space:  global
        .offset:         88
        .size:           8
        .value_kind:     global_buffer
      - .actual_access:  write_only
        .address_space:  global
        .offset:         96
        .size:           8
        .value_kind:     global_buffer
    .group_segment_fixed_size: 0
    .kernarg_segment_align: 8
    .kernarg_segment_size: 104
    .language:       OpenCL C
    .language_version:
      - 2
      - 0
    .max_flat_workgroup_size: 255
    .name:           fft_rtc_back_len1190_factors_17_2_5_7_wgs_255_tpt_85_halfLds_half_op_CI_CI_unitstride_sbrr_dirReg
    .private_segment_fixed_size: 0
    .sgpr_count:     42
    .sgpr_spill_count: 0
    .symbol:         fft_rtc_back_len1190_factors_17_2_5_7_wgs_255_tpt_85_halfLds_half_op_CI_CI_unitstride_sbrr_dirReg.kd
    .uniform_work_group_size: 1
    .uses_dynamic_stack: false
    .vgpr_count:     93
    .vgpr_spill_count: 0
    .wavefront_size: 64
amdhsa.target:   amdgcn-amd-amdhsa--gfx906
amdhsa.version:
  - 1
  - 2
...

	.end_amdgpu_metadata
